;; amdgpu-corpus repo=ROCm/rocFFT kind=compiled arch=gfx1030 opt=O3
	.text
	.amdgcn_target "amdgcn-amd-amdhsa--gfx1030"
	.amdhsa_code_object_version 6
	.protected	fft_rtc_fwd_len416_factors_13_2_16_wgs_64_tpt_32_dp_ip_CI_sbrr_dirReg ; -- Begin function fft_rtc_fwd_len416_factors_13_2_16_wgs_64_tpt_32_dp_ip_CI_sbrr_dirReg
	.globl	fft_rtc_fwd_len416_factors_13_2_16_wgs_64_tpt_32_dp_ip_CI_sbrr_dirReg
	.p2align	8
	.type	fft_rtc_fwd_len416_factors_13_2_16_wgs_64_tpt_32_dp_ip_CI_sbrr_dirReg,@function
fft_rtc_fwd_len416_factors_13_2_16_wgs_64_tpt_32_dp_ip_CI_sbrr_dirReg: ; @fft_rtc_fwd_len416_factors_13_2_16_wgs_64_tpt_32_dp_ip_CI_sbrr_dirReg
; %bb.0:
	s_clause 0x2
	s_load_dwordx2 s[14:15], s[4:5], 0x18
	s_load_dwordx4 s[8:11], s[4:5], 0x0
	s_load_dwordx2 s[12:13], s[4:5], 0x50
	v_lshrrev_b32_e32 v1, 5, v0
	v_mov_b32_e32 v3, 0
	v_lshl_or_b32 v5, s6, 1, v1
	v_mov_b32_e32 v1, 0
	v_mov_b32_e32 v6, v3
	v_mov_b32_e32 v2, 0
	s_waitcnt lgkmcnt(0)
	s_load_dwordx2 s[2:3], s[14:15], 0x0
	v_cmp_lt_u64_e64 s0, s[10:11], 2
	s_and_b32 vcc_lo, exec_lo, s0
	s_cbranch_vccnz .LBB0_8
; %bb.1:
	s_load_dwordx2 s[0:1], s[4:5], 0x10
	v_mov_b32_e32 v1, 0
	s_add_u32 s6, s14, 8
	v_mov_b32_e32 v2, 0
	s_addc_u32 s7, s15, 0
	s_mov_b64 s[18:19], 1
	s_waitcnt lgkmcnt(0)
	s_add_u32 s16, s0, 8
	s_addc_u32 s17, s1, 0
.LBB0_2:                                ; =>This Inner Loop Header: Depth=1
	s_load_dwordx2 s[20:21], s[16:17], 0x0
                                        ; implicit-def: $vgpr7_vgpr8
	s_mov_b32 s0, exec_lo
	s_waitcnt lgkmcnt(0)
	v_or_b32_e32 v4, s21, v6
	v_cmpx_ne_u64_e32 0, v[3:4]
	s_xor_b32 s1, exec_lo, s0
	s_cbranch_execz .LBB0_4
; %bb.3:                                ;   in Loop: Header=BB0_2 Depth=1
	v_cvt_f32_u32_e32 v4, s20
	v_cvt_f32_u32_e32 v7, s21
	s_sub_u32 s0, 0, s20
	s_subb_u32 s22, 0, s21
	v_fmac_f32_e32 v4, 0x4f800000, v7
	v_rcp_f32_e32 v4, v4
	v_mul_f32_e32 v4, 0x5f7ffffc, v4
	v_mul_f32_e32 v7, 0x2f800000, v4
	v_trunc_f32_e32 v7, v7
	v_fmac_f32_e32 v4, 0xcf800000, v7
	v_cvt_u32_f32_e32 v7, v7
	v_cvt_u32_f32_e32 v4, v4
	v_mul_lo_u32 v8, s0, v7
	v_mul_hi_u32 v9, s0, v4
	v_mul_lo_u32 v10, s22, v4
	v_add_nc_u32_e32 v8, v9, v8
	v_mul_lo_u32 v9, s0, v4
	v_add_nc_u32_e32 v8, v8, v10
	v_mul_hi_u32 v10, v4, v9
	v_mul_lo_u32 v11, v4, v8
	v_mul_hi_u32 v12, v4, v8
	v_mul_hi_u32 v13, v7, v9
	v_mul_lo_u32 v9, v7, v9
	v_mul_hi_u32 v14, v7, v8
	v_mul_lo_u32 v8, v7, v8
	v_add_co_u32 v10, vcc_lo, v10, v11
	v_add_co_ci_u32_e32 v11, vcc_lo, 0, v12, vcc_lo
	v_add_co_u32 v9, vcc_lo, v10, v9
	v_add_co_ci_u32_e32 v9, vcc_lo, v11, v13, vcc_lo
	v_add_co_ci_u32_e32 v10, vcc_lo, 0, v14, vcc_lo
	v_add_co_u32 v8, vcc_lo, v9, v8
	v_add_co_ci_u32_e32 v9, vcc_lo, 0, v10, vcc_lo
	v_add_co_u32 v4, vcc_lo, v4, v8
	v_add_co_ci_u32_e32 v7, vcc_lo, v7, v9, vcc_lo
	v_mul_hi_u32 v8, s0, v4
	v_mul_lo_u32 v10, s22, v4
	v_mul_lo_u32 v9, s0, v7
	v_add_nc_u32_e32 v8, v8, v9
	v_mul_lo_u32 v9, s0, v4
	v_add_nc_u32_e32 v8, v8, v10
	v_mul_hi_u32 v10, v4, v9
	v_mul_lo_u32 v11, v4, v8
	v_mul_hi_u32 v12, v4, v8
	v_mul_hi_u32 v13, v7, v9
	v_mul_lo_u32 v9, v7, v9
	v_mul_hi_u32 v14, v7, v8
	v_mul_lo_u32 v8, v7, v8
	v_add_co_u32 v10, vcc_lo, v10, v11
	v_add_co_ci_u32_e32 v11, vcc_lo, 0, v12, vcc_lo
	v_add_co_u32 v9, vcc_lo, v10, v9
	v_add_co_ci_u32_e32 v9, vcc_lo, v11, v13, vcc_lo
	v_add_co_ci_u32_e32 v10, vcc_lo, 0, v14, vcc_lo
	v_add_co_u32 v8, vcc_lo, v9, v8
	v_add_co_ci_u32_e32 v9, vcc_lo, 0, v10, vcc_lo
	v_add_co_u32 v4, vcc_lo, v4, v8
	v_add_co_ci_u32_e32 v11, vcc_lo, v7, v9, vcc_lo
	v_mul_hi_u32 v13, v5, v4
	v_mad_u64_u32 v[9:10], null, v6, v4, 0
	v_mad_u64_u32 v[7:8], null, v5, v11, 0
	;; [unrolled: 1-line block ×3, first 2 shown]
	v_add_co_u32 v4, vcc_lo, v13, v7
	v_add_co_ci_u32_e32 v7, vcc_lo, 0, v8, vcc_lo
	v_add_co_u32 v4, vcc_lo, v4, v9
	v_add_co_ci_u32_e32 v4, vcc_lo, v7, v10, vcc_lo
	v_add_co_ci_u32_e32 v7, vcc_lo, 0, v12, vcc_lo
	v_add_co_u32 v4, vcc_lo, v4, v11
	v_add_co_ci_u32_e32 v9, vcc_lo, 0, v7, vcc_lo
	v_mul_lo_u32 v10, s21, v4
	v_mad_u64_u32 v[7:8], null, s20, v4, 0
	v_mul_lo_u32 v11, s20, v9
	v_sub_co_u32 v7, vcc_lo, v5, v7
	v_add3_u32 v8, v8, v11, v10
	v_sub_nc_u32_e32 v10, v6, v8
	v_subrev_co_ci_u32_e64 v10, s0, s21, v10, vcc_lo
	v_add_co_u32 v11, s0, v4, 2
	v_add_co_ci_u32_e64 v12, s0, 0, v9, s0
	v_sub_co_u32 v13, s0, v7, s20
	v_sub_co_ci_u32_e32 v8, vcc_lo, v6, v8, vcc_lo
	v_subrev_co_ci_u32_e64 v10, s0, 0, v10, s0
	v_cmp_le_u32_e32 vcc_lo, s20, v13
	v_cmp_eq_u32_e64 s0, s21, v8
	v_cndmask_b32_e64 v13, 0, -1, vcc_lo
	v_cmp_le_u32_e32 vcc_lo, s21, v10
	v_cndmask_b32_e64 v14, 0, -1, vcc_lo
	v_cmp_le_u32_e32 vcc_lo, s20, v7
	;; [unrolled: 2-line block ×3, first 2 shown]
	v_cndmask_b32_e64 v15, 0, -1, vcc_lo
	v_cmp_eq_u32_e32 vcc_lo, s21, v10
	v_cndmask_b32_e64 v7, v15, v7, s0
	v_cndmask_b32_e32 v10, v14, v13, vcc_lo
	v_add_co_u32 v13, vcc_lo, v4, 1
	v_add_co_ci_u32_e32 v14, vcc_lo, 0, v9, vcc_lo
	v_cmp_ne_u32_e32 vcc_lo, 0, v10
	v_cndmask_b32_e32 v8, v14, v12, vcc_lo
	v_cndmask_b32_e32 v10, v13, v11, vcc_lo
	v_cmp_ne_u32_e32 vcc_lo, 0, v7
	v_cndmask_b32_e32 v8, v9, v8, vcc_lo
	v_cndmask_b32_e32 v7, v4, v10, vcc_lo
.LBB0_4:                                ;   in Loop: Header=BB0_2 Depth=1
	s_andn2_saveexec_b32 s0, s1
	s_cbranch_execz .LBB0_6
; %bb.5:                                ;   in Loop: Header=BB0_2 Depth=1
	v_cvt_f32_u32_e32 v4, s20
	s_sub_i32 s1, 0, s20
	v_rcp_iflag_f32_e32 v4, v4
	v_mul_f32_e32 v4, 0x4f7ffffe, v4
	v_cvt_u32_f32_e32 v4, v4
	v_mul_lo_u32 v7, s1, v4
	v_mul_hi_u32 v7, v4, v7
	v_add_nc_u32_e32 v4, v4, v7
	v_mul_hi_u32 v4, v5, v4
	v_mul_lo_u32 v7, v4, s20
	v_add_nc_u32_e32 v8, 1, v4
	v_sub_nc_u32_e32 v7, v5, v7
	v_subrev_nc_u32_e32 v9, s20, v7
	v_cmp_le_u32_e32 vcc_lo, s20, v7
	v_cndmask_b32_e32 v7, v7, v9, vcc_lo
	v_cndmask_b32_e32 v4, v4, v8, vcc_lo
	v_cmp_le_u32_e32 vcc_lo, s20, v7
	v_add_nc_u32_e32 v8, 1, v4
	v_cndmask_b32_e32 v7, v4, v8, vcc_lo
	v_mov_b32_e32 v8, v3
.LBB0_6:                                ;   in Loop: Header=BB0_2 Depth=1
	s_or_b32 exec_lo, exec_lo, s0
	s_load_dwordx2 s[0:1], s[6:7], 0x0
	v_mul_lo_u32 v4, v8, s20
	v_mul_lo_u32 v11, v7, s21
	v_mad_u64_u32 v[9:10], null, v7, s20, 0
	s_add_u32 s18, s18, 1
	s_addc_u32 s19, s19, 0
	s_add_u32 s6, s6, 8
	s_addc_u32 s7, s7, 0
	;; [unrolled: 2-line block ×3, first 2 shown]
	v_add3_u32 v4, v10, v11, v4
	v_sub_co_u32 v5, vcc_lo, v5, v9
	v_sub_co_ci_u32_e32 v4, vcc_lo, v6, v4, vcc_lo
	s_waitcnt lgkmcnt(0)
	v_mul_lo_u32 v6, s1, v5
	v_mul_lo_u32 v4, s0, v4
	v_mad_u64_u32 v[1:2], null, s0, v5, v[1:2]
	v_cmp_ge_u64_e64 s0, s[18:19], s[10:11]
	s_and_b32 vcc_lo, exec_lo, s0
	v_add3_u32 v2, v6, v2, v4
	s_cbranch_vccnz .LBB0_9
; %bb.7:                                ;   in Loop: Header=BB0_2 Depth=1
	v_mov_b32_e32 v5, v7
	v_mov_b32_e32 v6, v8
	s_branch .LBB0_2
.LBB0_8:
	v_mov_b32_e32 v8, v6
	v_mov_b32_e32 v7, v5
.LBB0_9:
	s_lshl_b64 s[0:1], s[10:11], 3
	v_and_b32_e32 v114, 31, v0
	s_add_u32 s0, s14, s0
	s_addc_u32 s1, s15, s1
	s_load_dwordx2 s[0:1], s[0:1], 0x0
	s_load_dwordx2 s[4:5], s[4:5], 0x20
	v_or_b32_e32 v82, 32, v114
	v_or_b32_e32 v79, 64, v114
	;; [unrolled: 1-line block ×6, first 2 shown]
	s_waitcnt lgkmcnt(0)
	v_mul_lo_u32 v3, s0, v8
	v_mul_lo_u32 v4, s1, v7
	v_mad_u64_u32 v[1:2], null, s0, v7, v[1:2]
	v_cmp_gt_u64_e32 vcc_lo, s[4:5], v[7:8]
	v_cmp_le_u64_e64 s0, s[4:5], v[7:8]
	v_add3_u32 v2, v4, v2, v3
	s_and_saveexec_b32 s1, s0
	s_xor_b32 s0, exec_lo, s1
; %bb.10:
	v_or_b32_e32 v82, 32, v114
	v_or_b32_e32 v79, 64, v114
	;; [unrolled: 1-line block ×6, first 2 shown]
; %bb.11:
	s_or_saveexec_b32 s1, s0
	v_lshlrev_b64 v[108:109], 4, v[1:2]
                                        ; implicit-def: $vgpr7_vgpr8
                                        ; implicit-def: $vgpr23_vgpr24
                                        ; implicit-def: $vgpr27_vgpr28
                                        ; implicit-def: $vgpr31_vgpr32
                                        ; implicit-def: $vgpr35_vgpr36
                                        ; implicit-def: $vgpr47_vgpr48
                                        ; implicit-def: $vgpr43_vgpr44
                                        ; implicit-def: $vgpr19_vgpr20
                                        ; implicit-def: $vgpr15_vgpr16
                                        ; implicit-def: $vgpr11_vgpr12
                                        ; implicit-def: $vgpr39_vgpr40
                                        ; implicit-def: $vgpr51_vgpr52
                                        ; implicit-def: $vgpr3_vgpr4
	s_xor_b32 exec_lo, exec_lo, s1
	s_cbranch_execz .LBB0_13
; %bb.12:
	v_mad_u64_u32 v[1:2], null, s2, v114, 0
	v_mad_u64_u32 v[3:4], null, s2, v82, 0
	;; [unrolled: 1-line block ×4, first 2 shown]
	v_add_co_u32 v43, s0, s12, v108
	v_mad_u64_u32 v[5:6], null, s3, v114, v[2:3]
	v_mad_u64_u32 v[13:14], null, s2, v80, 0
	v_add_co_ci_u32_e64 v44, s0, s13, v109, s0
	v_or_b32_e32 v21, 0xe0, v114
	v_or_b32_e32 v39, 0x100, v114
	v_mad_u64_u32 v[6:7], null, s3, v82, v[4:5]
	v_mov_b32_e32 v2, v5
	v_mov_b32_e32 v5, v10
	v_mad_u64_u32 v[37:38], null, s2, v21, 0
	v_or_b32_e32 v40, 0x120, v114
	v_lshlrev_b64 v[1:2], 4, v[1:2]
	v_mov_b32_e32 v4, v6
	v_mov_b32_e32 v6, v12
	;; [unrolled: 1-line block ×3, first 2 shown]
	v_or_b32_e32 v41, 0x140, v114
	v_or_b32_e32 v53, 0x160, v114
	v_lshlrev_b64 v[3:4], 4, v[3:4]
	v_mad_u64_u32 v[7:8], null, s3, v79, v[5:6]
	v_add_co_u32 v1, s0, v43, v1
	v_add_co_ci_u32_e64 v2, s0, v44, v2, s0
	v_add_co_u32 v15, s0, v43, v3
	v_mad_u64_u32 v[17:18], null, s3, v78, v[6:7]
	v_mad_u64_u32 v[18:19], null, s2, v77, 0
	v_add_co_ci_u32_e64 v16, s0, v44, v4, s0
	v_mov_b32_e32 v10, v7
	s_clause 0x1
	global_load_dwordx4 v[1:4], v[1:2], off
	global_load_dwordx4 v[5:8], v[15:16], off
	v_mad_u64_u32 v[14:15], null, s3, v80, v[12:13]
	v_mov_b32_e32 v15, v19
	v_mov_b32_e32 v12, v17
	v_lshlrev_b64 v[9:10], 4, v[9:10]
	v_mad_u64_u32 v[15:16], null, s3, v77, v[15:16]
	v_mad_u64_u32 v[16:17], null, s2, v81, 0
	v_lshlrev_b64 v[11:12], 4, v[11:12]
	v_add_co_u32 v9, s0, v43, v9
	v_lshlrev_b64 v[13:14], 4, v[13:14]
	v_mov_b32_e32 v19, v15
	v_add_co_ci_u32_e64 v10, s0, v44, v10, s0
	v_mov_b32_e32 v15, v17
	v_add_co_u32 v11, s0, v43, v11
	v_lshlrev_b64 v[17:18], 4, v[18:19]
	v_add_co_ci_u32_e64 v12, s0, v44, v12, s0
	v_mad_u64_u32 v[19:20], null, s3, v81, v[15:16]
	v_add_co_u32 v13, s0, v43, v13
	v_mov_b32_e32 v15, v38
	v_add_co_ci_u32_e64 v14, s0, v44, v14, s0
	v_add_co_u32 v33, s0, v43, v17
	v_add_co_ci_u32_e64 v34, s0, v44, v18, s0
	v_mov_b32_e32 v17, v19
	v_mad_u64_u32 v[18:19], null, s3, v21, v[15:16]
	v_mad_u64_u32 v[19:20], null, s2, v39, 0
	s_clause 0x3
	global_load_dwordx4 v[21:24], v[9:10], off
	global_load_dwordx4 v[25:28], v[11:12], off
	;; [unrolled: 1-line block ×4, first 2 shown]
	v_mad_u64_u32 v[12:13], null, s2, v40, 0
	v_lshlrev_b64 v[9:10], 4, v[16:17]
	v_mov_b32_e32 v38, v18
	v_mov_b32_e32 v11, v20
	v_lshlrev_b64 v[14:15], 4, v[37:38]
	v_add_co_u32 v9, s0, v43, v9
	v_mad_u64_u32 v[16:17], null, s3, v39, v[11:12]
	v_mad_u64_u32 v[17:18], null, s2, v41, 0
	v_mov_b32_e32 v11, v13
	v_add_co_ci_u32_e64 v10, s0, v44, v10, s0
	v_add_co_u32 v14, s0, v43, v14
	v_mad_u64_u32 v[37:38], null, s3, v40, v[11:12]
	v_mov_b32_e32 v11, v18
	v_mad_u64_u32 v[38:39], null, s2, v53, 0
	v_mov_b32_e32 v20, v16
	v_or_b32_e32 v16, 0x180, v114
	v_mad_u64_u32 v[40:41], null, s3, v41, v[11:12]
	v_mov_b32_e32 v13, v37
	v_add_co_ci_u32_e64 v15, s0, v44, v15, s0
	v_mad_u64_u32 v[41:42], null, s2, v16, 0
	v_mov_b32_e32 v11, v39
	s_clause 0x1
	global_load_dwordx4 v[49:52], v[9:10], off
	global_load_dwordx4 v[45:48], v[14:15], off
	v_lshlrev_b64 v[9:10], 4, v[19:20]
	v_mov_b32_e32 v18, v40
	v_mad_u64_u32 v[14:15], null, s3, v53, v[11:12]
	v_lshlrev_b64 v[12:13], 4, v[12:13]
	v_mov_b32_e32 v11, v42
	v_add_co_u32 v9, s0, v43, v9
	v_add_co_ci_u32_e64 v10, s0, v44, v10, s0
	v_mad_u64_u32 v[15:16], null, s3, v16, v[11:12]
	v_lshlrev_b64 v[16:17], 4, v[17:18]
	v_mov_b32_e32 v39, v14
	v_add_co_u32 v11, s0, v43, v12
	v_add_co_ci_u32_e64 v12, s0, v44, v13, s0
	v_mov_b32_e32 v42, v15
	v_lshlrev_b64 v[13:14], 4, v[38:39]
	v_add_co_u32 v15, s0, v43, v16
	v_add_co_ci_u32_e64 v16, s0, v44, v17, s0
	v_lshlrev_b64 v[17:18], 4, v[41:42]
	v_add_co_u32 v13, s0, v43, v13
	v_add_co_ci_u32_e64 v14, s0, v44, v14, s0
	v_add_co_u32 v53, s0, v43, v17
	v_add_co_ci_u32_e64 v54, s0, v44, v18, s0
	s_clause 0x4
	global_load_dwordx4 v[41:44], v[9:10], off
	global_load_dwordx4 v[37:40], v[11:12], off
	;; [unrolled: 1-line block ×5, first 2 shown]
.LBB0_13:
	s_or_b32 exec_lo, exec_lo, s1
	s_waitcnt vmcnt(11)
	v_add_f64 v[53:54], v[5:6], v[1:2]
	v_add_f64 v[55:56], v[7:8], v[3:4]
	s_waitcnt vmcnt(3)
	v_add_f64 v[65:66], v[29:30], v[37:38]
	v_add_f64 v[63:64], v[29:30], -v[37:38]
	s_mov_b32 s0, 0xe00740e9
	s_mov_b32 s6, 0x4267c47c
	;; [unrolled: 1-line block ×6, first 2 shown]
	v_add_f64 v[57:58], v[49:50], -v[45:46]
	s_waitcnt vmcnt(2)
	v_add_f64 v[69:70], v[25:26], v[17:18]
	v_add_f64 v[67:68], v[27:28], v[19:20]
	v_add_f64 v[71:72], v[25:26], -v[17:18]
	s_waitcnt vmcnt(1)
	v_add_f64 v[75:76], v[21:22], v[13:14]
	v_add_f64 v[73:74], v[21:22], -v[13:14]
	s_mov_b32 s4, 0x1ea71119
	s_mov_b32 s24, 0x42a4c3d2
	;; [unrolled: 1-line block ×6, first 2 shown]
	v_add_f64 v[53:54], v[21:22], v[53:54]
	v_add_f64 v[55:56], v[23:24], v[55:56]
	v_add_f64 v[21:22], v[23:24], -v[15:16]
	s_mov_b32 s14, 0xebaa3ed8
	s_mov_b32 s20, 0x66966769
	;; [unrolled: 1-line block ×8, first 2 shown]
	v_mul_f64 v[89:90], v[69:70], s[14:15]
	s_mov_b32 s18, 0xd0032e0c
	v_mul_f64 v[91:92], v[71:72], s[22:23]
	s_mov_b32 s38, 0x93053d00
	s_mov_b32 s36, 0x24c2f84
	;; [unrolled: 1-line block ×8, first 2 shown]
	v_add_f64 v[53:54], v[25:26], v[53:54]
	v_add_f64 v[55:56], v[27:28], v[55:56]
	v_add_f64 v[25:26], v[27:28], -v[19:20]
	v_add_f64 v[27:28], v[23:24], v[15:16]
	s_waitcnt vmcnt(0)
	v_add_f64 v[23:24], v[7:8], v[11:12]
	v_add_f64 v[7:8], v[7:8], -v[11:12]
	s_mov_b32 s37, 0x3fe5384d
	s_mov_b32 s35, 0xbfe5384d
	;; [unrolled: 1-line block ×7, first 2 shown]
	v_mul_f64 v[112:113], v[65:66], s[16:17]
	v_mul_f64 v[115:116], v[63:64], s[28:29]
	v_and_b32_e32 v0, 32, v0
	v_add_f64 v[53:54], v[29:30], v[53:54]
	v_add_f64 v[55:56], v[31:32], v[55:56]
	v_add_f64 v[29:30], v[31:32], -v[39:40]
	v_fma_f64 v[119:120], v[25:26], s[20:21], v[89:90]
	v_fma_f64 v[89:90], v[25:26], s[22:23], v[89:90]
	v_add_f64 v[53:54], v[33:34], v[53:54]
	v_add_f64 v[55:56], v[35:36], v[55:56]
	;; [unrolled: 1-line block ×6, first 2 shown]
	v_add_f64 v[49:50], v[51:52], -v[47:48]
	v_add_f64 v[51:52], v[33:34], -v[41:42]
	v_add_f64 v[83:84], v[45:46], v[59:60]
	v_add_f64 v[85:86], v[47:48], v[61:62]
	;; [unrolled: 1-line block ×4, first 2 shown]
	v_add_f64 v[5:6], v[5:6], -v[9:10]
	v_add_f64 v[61:62], v[33:34], v[41:42]
	v_add_f64 v[45:46], v[35:36], v[43:44]
	v_add_f64 v[47:48], v[35:36], -v[43:44]
	v_add_f64 v[33:34], v[41:42], v[83:84]
	v_add_f64 v[35:36], v[43:44], v[85:86]
	v_mul_f64 v[41:42], v[31:32], s[0:1]
	v_mul_f64 v[43:44], v[5:6], s[10:11]
	;; [unrolled: 1-line block ×10, first 2 shown]
	v_add_f64 v[33:34], v[37:38], v[33:34]
	v_add_f64 v[35:36], v[39:40], v[35:36]
	v_mul_f64 v[37:38], v[75:76], s[4:5]
	v_mul_f64 v[39:40], v[73:74], s[26:27]
	v_fma_f64 v[83:84], v[7:8], s[6:7], v[41:42]
	v_fma_f64 v[85:86], v[23:24], s[0:1], v[43:44]
	v_fma_f64 v[43:44], v[23:24], s[0:1], -v[43:44]
	v_fma_f64 v[121:122], v[7:8], s[36:37], v[99:100]
	v_fma_f64 v[99:100], v[7:8], s[34:35], v[99:100]
	v_fma_f64 v[123:124], v[23:24], s[14:15], v[101:102]
	v_fma_f64 v[101:102], v[23:24], s[14:15], -v[101:102]
	v_add_f64 v[17:18], v[17:18], v[33:34]
	v_add_f64 v[19:20], v[19:20], v[35:36]
	v_fma_f64 v[93:94], v[21:22], s[24:25], v[37:38]
	v_fma_f64 v[95:96], v[27:28], s[4:5], v[39:40]
	v_add_f64 v[83:84], v[83:84], v[1:2]
	v_add_f64 v[85:86], v[85:86], v[3:4]
	v_mul_f64 v[33:34], v[31:32], s[4:5]
	v_mul_f64 v[35:36], v[31:32], s[14:15]
	;; [unrolled: 1-line block ×3, first 2 shown]
	v_add_f64 v[43:44], v[43:44], v[3:4]
	v_add_f64 v[123:124], v[123:124], v[3:4]
	;; [unrolled: 1-line block ×5, first 2 shown]
	v_fma_f64 v[37:38], v[21:22], s[26:27], v[37:38]
	v_fma_f64 v[39:40], v[27:28], s[4:5], -v[39:40]
	v_add_f64 v[5:6], v[13:14], v[17:18]
	v_add_f64 v[13:14], v[15:16], v[19:20]
	v_fma_f64 v[15:16], v[7:8], s[10:11], v[41:42]
	v_fma_f64 v[41:42], v[7:8], s[30:31], v[87:88]
	v_add_f64 v[83:84], v[93:94], v[83:84]
	v_fma_f64 v[93:94], v[67:68], s[14:15], v[91:92]
	v_add_f64 v[85:86], v[95:96], v[85:86]
	v_fma_f64 v[17:18], v[7:8], s[24:25], v[33:34]
	v_fma_f64 v[19:20], v[7:8], s[26:27], v[33:34]
	;; [unrolled: 1-line block ×6, first 2 shown]
	v_fma_f64 v[97:98], v[23:24], s[4:5], -v[97:98]
	v_fma_f64 v[125:126], v[7:8], s[40:41], v[31:32]
	v_fma_f64 v[31:32], v[7:8], s[42:43], v[31:32]
	v_add_f64 v[39:40], v[39:40], v[43:44]
	v_fma_f64 v[91:92], v[67:68], s[14:15], -v[91:92]
	v_add_f64 v[5:6], v[9:10], v[5:6]
	v_add_f64 v[7:8], v[11:12], v[13:14]
	v_fma_f64 v[9:10], v[23:24], s[16:17], v[103:104]
	v_fma_f64 v[11:12], v[23:24], s[16:17], -v[103:104]
	v_fma_f64 v[13:14], v[23:24], s[18:19], v[105:106]
	v_fma_f64 v[103:104], v[23:24], s[18:19], -v[105:106]
	;; [unrolled: 2-line block ×3, first 2 shown]
	v_mul_f64 v[110:111], v[51:52], s[34:35]
	v_add_f64 v[83:84], v[119:120], v[83:84]
	v_fma_f64 v[119:120], v[29:30], s[30:31], v[112:113]
	v_add_f64 v[85:86], v[93:94], v[85:86]
	v_fma_f64 v[93:94], v[59:60], s[16:17], v[115:116]
	v_add_f64 v[15:16], v[15:16], v[1:2]
	v_add_f64 v[17:18], v[17:18], v[1:2]
	;; [unrolled: 1-line block ×17, first 2 shown]
	v_mul_f64 v[31:32], v[55:56], s[38:39]
	v_fma_f64 v[1:2], v[47:48], s[36:37], v[117:118]
	v_add_f64 v[3:4], v[119:120], v[83:84]
	v_fma_f64 v[35:36], v[45:46], s[18:19], v[110:111]
	v_add_f64 v[83:84], v[93:94], v[85:86]
	v_mul_f64 v[85:86], v[57:58], s[42:43]
	v_add_f64 v[15:16], v[37:38], v[15:16]
	v_add_f64 v[39:40], v[91:92], v[39:40]
	v_fma_f64 v[112:113], v[29:30], s[28:29], v[112:113]
	v_fma_f64 v[115:116], v[59:60], s[16:17], -v[115:116]
	v_mul_f64 v[93:94], v[73:74], s[42:43]
	v_fma_f64 v[117:118], v[47:48], s[34:35], v[117:118]
	v_fma_f64 v[110:111], v[45:46], s[18:19], -v[110:111]
	v_mul_f64 v[119:120], v[51:52], s[20:21]
	v_add_f64 v[1:2], v[1:2], v[3:4]
	v_fma_f64 v[3:4], v[49:50], s[40:41], v[31:32]
	v_add_f64 v[35:36], v[35:36], v[83:84]
	v_fma_f64 v[83:84], v[53:54], s[38:39], v[85:86]
	;; [unrolled: 2-line block ×3, first 2 shown]
	v_fma_f64 v[85:86], v[53:54], s[38:39], -v[85:86]
	v_add_f64 v[39:40], v[115:116], v[39:40]
	v_mul_f64 v[115:116], v[61:62], s[14:15]
	v_add_f64 v[1:2], v[3:4], v[1:2]
	v_add_f64 v[3:4], v[83:84], v[35:36]
	v_mul_f64 v[35:36], v[75:76], s[16:17]
	v_mul_f64 v[83:84], v[73:74], s[28:29]
	v_add_f64 v[15:16], v[112:113], v[15:16]
	v_add_f64 v[39:40], v[110:111], v[39:40]
	v_fma_f64 v[110:111], v[45:46], s[14:15], v[119:120]
	v_fma_f64 v[37:38], v[21:22], s[30:31], v[35:36]
	;; [unrolled: 1-line block ×4, first 2 shown]
	v_fma_f64 v[83:84], v[27:28], s[16:17], -v[83:84]
	v_add_f64 v[15:16], v[117:118], v[15:16]
	v_mul_f64 v[117:118], v[65:66], s[0:1]
	v_add_f64 v[17:18], v[37:38], v[17:18]
	v_mul_f64 v[37:38], v[75:76], s[38:39]
	v_add_f64 v[19:20], v[35:36], v[19:20]
	v_add_f64 v[83:84], v[83:84], v[97:98]
	v_mul_f64 v[97:98], v[71:72], s[42:43]
	v_add_f64 v[43:44], v[43:44], v[95:96]
	v_fma_f64 v[95:96], v[27:28], s[38:39], v[93:94]
	v_fma_f64 v[93:94], v[27:28], s[38:39], -v[93:94]
	v_fma_f64 v[35:36], v[21:22], s[40:41], v[37:38]
	v_fma_f64 v[91:92], v[67:68], s[38:39], v[97:98]
	v_fma_f64 v[97:98], v[67:68], s[38:39], -v[97:98]
	v_add_f64 v[95:96], v[95:96], v[123:124]
	v_add_f64 v[33:34], v[35:36], v[33:34]
	v_mul_f64 v[35:36], v[69:70], s[38:39]
	v_add_f64 v[43:44], v[91:92], v[43:44]
	v_add_f64 v[83:84], v[97:98], v[83:84]
	v_mul_f64 v[97:98], v[63:64], s[36:37]
	v_fma_f64 v[89:90], v[25:26], s[40:41], v[35:36]
	v_fma_f64 v[35:36], v[25:26], s[42:43], v[35:36]
	;; [unrolled: 1-line block ×3, first 2 shown]
	v_add_f64 v[17:18], v[89:90], v[17:18]
	v_mul_f64 v[89:90], v[69:70], s[16:17]
	v_add_f64 v[19:20], v[35:36], v[19:20]
	v_mul_f64 v[35:36], v[65:66], s[18:19]
	;; [unrolled: 2-line block ×3, first 2 shown]
	v_fma_f64 v[91:92], v[25:26], s[28:29], v[89:90]
	v_fma_f64 v[89:90], v[25:26], s[30:31], v[89:90]
	;; [unrolled: 1-line block ×3, first 2 shown]
	v_add_f64 v[91:92], v[91:92], v[33:34]
	v_fma_f64 v[33:34], v[29:30], s[34:35], v[35:36]
	v_add_f64 v[95:96], v[123:124], v[95:96]
	v_mul_f64 v[123:124], v[71:72], s[6:7]
	v_add_f64 v[17:18], v[33:34], v[17:18]
	v_fma_f64 v[33:34], v[29:30], s[36:37], v[35:36]
	v_fma_f64 v[35:36], v[59:60], s[18:19], -v[97:98]
	v_fma_f64 v[97:98], v[47:48], s[22:23], v[115:116]
	v_fma_f64 v[115:116], v[47:48], s[20:21], v[115:116]
	v_add_f64 v[19:20], v[33:34], v[19:20]
	v_add_f64 v[83:84], v[35:36], v[83:84]
	;; [unrolled: 1-line block ×3, first 2 shown]
	v_mul_f64 v[97:98], v[63:64], s[6:7]
	v_fma_f64 v[36:37], v[21:22], s[42:43], v[37:38]
	v_add_f64 v[32:33], v[31:32], v[15:16]
	v_add_f64 v[34:35], v[85:86], v[39:40]
	;; [unrolled: 1-line block ×3, first 2 shown]
	v_fma_f64 v[39:40], v[45:46], s[14:15], -v[119:120]
	v_fma_f64 v[43:44], v[29:30], s[10:11], v[117:118]
	v_mul_f64 v[85:86], v[61:62], s[4:5]
	v_mul_f64 v[119:120], v[73:74], s[36:37]
	v_add_f64 v[19:20], v[115:116], v[19:20]
	v_mul_f64 v[115:116], v[75:76], s[18:19]
	v_fma_f64 v[110:111], v[59:60], s[0:1], v[97:98]
	v_add_f64 v[36:37], v[36:37], v[127:128]
	v_add_f64 v[83:84], v[39:40], v[83:84]
	;; [unrolled: 1-line block ×3, first 2 shown]
	v_fma_f64 v[43:44], v[47:48], s[24:25], v[85:86]
	v_add_f64 v[91:92], v[93:94], v[101:102]
	v_fma_f64 v[93:94], v[67:68], s[16:17], -v[112:113]
	v_mul_f64 v[112:113], v[69:70], s[0:1]
	v_fma_f64 v[85:86], v[47:48], s[26:27], v[85:86]
	v_fma_f64 v[101:102], v[21:22], s[34:35], v[115:116]
	;; [unrolled: 1-line block ×3, first 2 shown]
	v_add_f64 v[95:96], v[110:111], v[95:96]
	v_fma_f64 v[110:111], v[27:28], s[18:19], v[119:120]
	v_add_f64 v[36:37], v[89:90], v[36:37]
	v_fma_f64 v[89:90], v[29:30], s[6:7], v[117:118]
	v_mul_f64 v[117:118], v[63:64], s[22:23]
	v_fma_f64 v[119:120], v[27:28], s[18:19], -v[119:120]
	v_add_f64 v[38:39], v[43:44], v[38:39]
	v_mul_f64 v[43:44], v[51:52], s[26:27]
	v_add_f64 v[91:92], v[93:94], v[91:92]
	v_fma_f64 v[93:94], v[59:60], s[0:1], -v[97:98]
	v_fma_f64 v[97:98], v[25:26], s[10:11], v[112:113]
	v_fma_f64 v[112:113], v[25:26], s[6:7], v[112:113]
	v_add_f64 v[40:41], v[101:102], v[41:42]
	v_fma_f64 v[101:102], v[67:68], s[0:1], v[123:124]
	v_add_f64 v[87:88], v[115:116], v[87:88]
	v_add_f64 v[9:10], v[110:111], v[9:10]
	v_mul_f64 v[110:111], v[65:66], s[14:15]
	v_add_f64 v[36:37], v[89:90], v[36:37]
	v_mul_f64 v[115:116], v[73:74], s[20:21]
	;; [unrolled: 2-line block ×3, first 2 shown]
	v_fma_f64 v[123:124], v[67:68], s[0:1], -v[123:124]
	v_fma_f64 v[89:90], v[45:46], s[4:5], v[43:44]
	v_fma_f64 v[42:43], v[45:46], s[4:5], -v[43:44]
	v_add_f64 v[91:92], v[93:94], v[91:92]
	v_mul_f64 v[73:74], v[73:74], s[6:7]
	v_add_f64 v[40:41], v[97:98], v[40:41]
	v_fma_f64 v[97:98], v[59:60], s[14:15], v[117:118]
	v_add_f64 v[87:88], v[112:113], v[87:88]
	v_add_f64 v[9:10], v[101:102], v[9:10]
	v_fma_f64 v[93:94], v[29:30], s[20:21], v[110:111]
	v_mul_f64 v[101:102], v[75:76], s[14:15]
	v_mul_f64 v[75:76], v[75:76], s[0:1]
	v_add_f64 v[36:37], v[85:86], v[36:37]
	v_mul_f64 v[85:86], v[51:52], s[40:41]
	v_fma_f64 v[112:113], v[47:48], s[42:43], v[119:120]
	v_add_f64 v[89:90], v[89:90], v[95:96]
	v_mul_f64 v[95:96], v[69:70], s[4:5]
	v_add_f64 v[91:92], v[42:43], v[91:92]
	v_add_f64 v[11:12], v[123:124], v[11:12]
	v_mul_f64 v[69:70], v[69:70], s[18:19]
	v_fma_f64 v[110:111], v[29:30], s[22:23], v[110:111]
	v_fma_f64 v[117:118], v[59:60], s[14:15], -v[117:118]
	v_add_f64 v[9:10], v[97:98], v[9:10]
	v_add_f64 v[40:41], v[93:94], v[40:41]
	v_fma_f64 v[42:43], v[21:22], s[22:23], v[101:102]
	v_fma_f64 v[93:94], v[27:28], s[14:15], v[115:116]
	;; [unrolled: 1-line block ×3, first 2 shown]
	v_fma_f64 v[115:116], v[27:28], s[14:15], -v[115:116]
	v_mul_f64 v[97:98], v[71:72], s[26:27]
	v_fma_f64 v[123:124], v[21:22], s[10:11], v[75:76]
	v_fma_f64 v[21:22], v[21:22], s[6:7], v[75:76]
	;; [unrolled: 1-line block ×3, first 2 shown]
	v_mul_f64 v[71:72], v[71:72], s[34:35]
	v_fma_f64 v[27:28], v[27:28], s[0:1], -v[73:74]
	v_fma_f64 v[73:74], v[45:46], s[38:39], v[85:86]
	v_add_f64 v[11:12], v[117:118], v[11:12]
	v_add_f64 v[40:41], v[112:113], v[40:41]
	;; [unrolled: 1-line block ×4, first 2 shown]
	v_fma_f64 v[93:94], v[25:26], s[24:25], v[95:96]
	v_add_f64 v[99:100], v[101:102], v[99:100]
	v_add_f64 v[101:102], v[115:116], v[103:104]
	v_mul_f64 v[103:104], v[65:66], s[38:39]
	v_fma_f64 v[121:122], v[67:68], s[4:5], v[97:98]
	v_fma_f64 v[95:96], v[25:26], s[26:27], v[95:96]
	v_fma_f64 v[97:98], v[67:68], s[4:5], -v[97:98]
	v_mul_f64 v[112:113], v[63:64], s[40:41]
	v_add_f64 v[115:116], v[123:124], v[125:126]
	v_add_f64 v[75:76], v[75:76], v[105:106]
	;; [unrolled: 1-line block ×3, first 2 shown]
	v_fma_f64 v[105:106], v[25:26], s[36:37], v[69:70]
	v_mul_f64 v[65:66], v[65:66], s[4:5]
	v_fma_f64 v[25:26], v[25:26], s[34:35], v[69:70]
	v_fma_f64 v[123:124], v[67:68], s[18:19], v[71:72]
	v_add_f64 v[69:70], v[73:74], v[9:10]
	v_mul_f64 v[9:10], v[63:64], s[24:25]
	v_add_f64 v[23:24], v[27:28], v[23:24]
	v_fma_f64 v[27:28], v[67:68], s[18:19], -v[71:72]
	v_add_f64 v[63:64], v[110:111], v[87:88]
	v_fma_f64 v[67:68], v[47:48], s[40:41], v[119:120]
	v_fma_f64 v[71:72], v[45:46], s[38:39], -v[85:86]
	v_add_f64 v[42:43], v[93:94], v[42:43]
	v_mul_f64 v[93:94], v[61:62], s[0:1]
	v_fma_f64 v[85:86], v[29:30], s[42:43], v[103:104]
	v_add_f64 v[13:14], v[121:122], v[13:14]
	v_add_f64 v[73:74], v[95:96], v[99:100]
	;; [unrolled: 1-line block ×3, first 2 shown]
	v_fma_f64 v[97:98], v[29:30], s[40:41], v[103:104]
	v_fma_f64 v[95:96], v[59:60], s[38:39], v[112:113]
	v_fma_f64 v[101:102], v[59:60], s[38:39], -v[112:113]
	v_mul_f64 v[99:100], v[51:52], s[6:7]
	v_add_f64 v[103:104], v[105:106], v[115:116]
	v_fma_f64 v[105:106], v[29:30], s[26:27], v[65:66]
	v_add_f64 v[21:22], v[25:26], v[21:22]
	v_mul_f64 v[25:26], v[61:62], s[16:17]
	v_add_f64 v[75:76], v[123:124], v[75:76]
	v_fma_f64 v[61:62], v[59:60], s[4:5], v[9:10]
	v_fma_f64 v[29:30], v[29:30], s[24:25], v[65:66]
	v_mul_f64 v[51:52], v[51:52], s[28:29]
	v_add_f64 v[23:24], v[27:28], v[23:24]
	v_fma_f64 v[9:10], v[59:60], s[4:5], -v[9:10]
	v_mul_f64 v[27:28], v[55:56], s[0:1]
	v_add_f64 v[59:60], v[67:68], v[63:64]
	v_mul_f64 v[63:64], v[57:58], s[6:7]
	v_add_f64 v[65:66], v[71:72], v[11:12]
	v_add_f64 v[42:43], v[85:86], v[42:43]
	v_fma_f64 v[71:72], v[47:48], s[10:11], v[93:94]
	v_mul_f64 v[11:12], v[55:56], s[18:19]
	v_mul_f64 v[67:68], v[57:58], s[34:35]
	v_add_f64 v[73:74], v[97:98], v[73:74]
	v_fma_f64 v[93:94], v[47:48], s[6:7], v[93:94]
	v_add_f64 v[13:14], v[95:96], v[13:14]
	v_add_f64 v[87:88], v[101:102], v[87:88]
	v_mul_f64 v[95:96], v[55:56], s[4:5]
	v_add_f64 v[97:98], v[105:106], v[103:104]
	v_mul_f64 v[101:102], v[57:58], s[24:25]
	v_fma_f64 v[103:104], v[47:48], s[30:31], v[25:26]
	v_fma_f64 v[85:86], v[45:46], s[0:1], v[99:100]
	v_add_f64 v[61:62], v[61:62], v[75:76]
	v_add_f64 v[21:22], v[29:30], v[21:22]
	v_fma_f64 v[29:30], v[45:46], s[16:17], v[51:52]
	v_mul_f64 v[75:76], v[55:56], s[16:17]
	v_fma_f64 v[25:26], v[47:48], s[28:29], v[25:26]
	v_mul_f64 v[47:48], v[57:58], s[28:29]
	v_add_f64 v[9:10], v[9:10], v[23:24]
	v_fma_f64 v[23:24], v[45:46], s[16:17], -v[51:52]
	v_mul_f64 v[51:52], v[55:56], s[14:15]
	v_mul_f64 v[55:56], v[57:58], s[20:21]
	v_fma_f64 v[44:45], v[45:46], s[0:1], -v[99:100]
	v_fma_f64 v[57:58], v[49:50], s[10:11], v[27:28]
	v_add_f64 v[42:43], v[71:72], v[42:43]
	v_fma_f64 v[71:72], v[53:54], s[0:1], v[63:64]
	v_fma_f64 v[27:28], v[49:50], s[6:7], v[27:28]
	;; [unrolled: 1-line block ×3, first 2 shown]
	v_add_f64 v[73:74], v[93:94], v[73:74]
	v_fma_f64 v[93:94], v[53:54], s[18:19], v[67:68]
	v_fma_f64 v[110:111], v[49:50], s[26:27], v[95:96]
	;; [unrolled: 1-line block ×3, first 2 shown]
	v_add_f64 v[97:98], v[103:104], v[97:98]
	v_fma_f64 v[103:104], v[53:54], s[4:5], v[101:102]
	v_add_f64 v[85:86], v[85:86], v[13:14]
	v_fma_f64 v[95:96], v[49:50], s[24:25], v[95:96]
	;; [unrolled: 2-line block ×4, first 2 shown]
	v_fma_f64 v[75:76], v[49:50], s[28:29], v[75:76]
	v_add_f64 v[23:24], v[23:24], v[9:10]
	v_fma_f64 v[117:118], v[49:50], s[22:23], v[51:52]
	v_fma_f64 v[119:120], v[53:54], s[14:15], v[55:56]
	;; [unrolled: 1-line block ×3, first 2 shown]
	v_fma_f64 v[55:56], v[53:54], s[14:15], -v[55:56]
	v_add_f64 v[87:88], v[44:45], v[87:88]
	v_fma_f64 v[46:47], v[53:54], s[16:17], -v[47:48]
	v_add_f64 v[9:10], v[57:58], v[17:18]
	v_fma_f64 v[57:58], v[53:54], s[4:5], -v[101:102]
	v_fma_f64 v[67:68], v[53:54], s[18:19], -v[67:68]
	;; [unrolled: 1-line block ×3, first 2 shown]
	v_add_f64 v[11:12], v[71:72], v[15:16]
	v_cmp_ne_u32_e64 s0, 0, v0
	v_add_f64 v[13:14], v[27:28], v[19:20]
	v_add_f64 v[17:18], v[99:100], v[38:39]
	;; [unrolled: 1-line block ×9, first 2 shown]
	v_cndmask_b32_e64 v59, 0, 0x1a0, s0
	v_add_f64 v[48:49], v[117:118], v[97:98]
	v_add_f64 v[50:51], v[119:120], v[29:30]
	;; [unrolled: 1-line block ×6, first 2 shown]
	v_lshl_add_u32 v29, v59, 4, 0
	v_add_f64 v[38:39], v[57:58], v[65:66]
	v_add_f64 v[23:24], v[67:68], v[91:92]
	;; [unrolled: 1-line block ×3, first 2 shown]
	v_cmp_gt_u32_e64 s0, 16, v114
	v_mad_u32_u24 v0, 0xd0, v114, v29
	ds_write_b128 v0, v[5:8]
	ds_write_b128 v0, v[1:4] offset:16
	ds_write_b128 v0, v[9:12] offset:32
	;; [unrolled: 1-line block ×12, first 2 shown]
	v_lshl_add_u32 v56, v114, 4, v29
	v_mad_i32_i24 v60, 0xffffff40, v114, v0
	v_lshl_add_u32 v8, v79, 4, v29
	v_lshl_add_u32 v16, v78, 4, v29
	;; [unrolled: 1-line block ×5, first 2 shown]
	s_waitcnt lgkmcnt(0)
	s_barrier
	buffer_gl0_inv
	ds_read_b128 v[0:3], v56
	ds_read_b128 v[20:23], v60 offset:3328
	ds_read_b128 v[12:15], v60 offset:3840
	;; [unrolled: 1-line block ×3, first 2 shown]
	ds_read_b128 v[8:11], v8
	ds_read_b128 v[16:19], v16
	ds_read_b128 v[28:31], v60 offset:4864
	ds_read_b128 v[24:27], v60 offset:5376
	ds_read_b128 v[52:55], v37
	ds_read_b128 v[48:51], v38
	;; [unrolled: 1-line block ×3, first 2 shown]
	ds_read_b128 v[36:39], v60 offset:5888
	v_lshlrev_b32_e32 v57, 4, v59
                                        ; implicit-def: $vgpr42_vgpr43
	s_and_saveexec_b32 s1, s0
	s_cbranch_execz .LBB0_15
; %bb.14:
	v_lshlrev_b32_e32 v32, 4, v81
	v_add3_u32 v32, 0, v32, v57
	ds_read_b128 v[32:35], v32
	ds_read_b128 v[40:43], v60 offset:6400
.LBB0_15:
	s_or_b32 exec_lo, exec_lo, s1
	v_and_b32_e32 v58, 0xff, v82
	v_mul_lo_u16 v59, v114, 20
	v_and_b32_e32 v61, 0xff, v79
	v_and_b32_e32 v62, 0xff, v78
	v_mov_b32_e32 v83, 4
	v_mul_lo_u16 v58, 0x4f, v58
	v_lshrrev_b16 v101, 8, v59
	v_and_b32_e32 v63, 0xff, v80
	v_and_b32_e32 v64, 0xff, v77
	;; [unrolled: 1-line block ×3, first 2 shown]
	v_lshrrev_b16 v102, 10, v58
	v_mul_lo_u16 v58, 0x4f, v61
	v_mul_lo_u16 v61, 0x4f, v62
	;; [unrolled: 1-line block ×6, first 2 shown]
	v_lshrrev_b16 v103, 10, v58
	v_sub_nc_u16 v62, v114, v62
	v_mul_lo_u16 v59, 0x4f, v59
	v_sub_nc_u16 v58, v82, v65
	v_lshrrev_b16 v104, 10, v61
	v_lshrrev_b16 v105, 10, v63
	v_lshlrev_b32_sdwa v110, v83, v62 dst_sel:DWORD dst_unused:UNUSED_PAD src0_sel:DWORD src1_sel:BYTE_0
	v_lshrrev_b16 v106, 10, v64
	v_mul_lo_u16 v69, v103, 13
	v_lshlrev_b32_sdwa v111, v83, v58 dst_sel:DWORD dst_unused:UNUSED_PAD src0_sel:DWORD src1_sel:BYTE_0
	v_lshrrev_b16 v58, 10, v59
	global_load_dwordx4 v[61:64], v110, s[8:9]
	v_mul_lo_u16 v70, v104, 13
	v_sub_nc_u16 v59, v79, v69
	global_load_dwordx4 v[65:68], v111, s[8:9]
	v_mul_lo_u16 v69, v106, 13
	v_mul_lo_u16 v71, v105, 13
	;; [unrolled: 1-line block ×3, first 2 shown]
	v_sub_nc_u16 v70, v78, v70
	v_lshlrev_b32_sdwa v112, v83, v59 dst_sel:DWORD dst_unused:UNUSED_PAD src0_sel:DWORD src1_sel:BYTE_0
	v_sub_nc_u16 v59, v77, v69
	v_sub_nc_u16 v71, v80, v71
	;; [unrolled: 1-line block ×3, first 2 shown]
	v_lshlrev_b32_sdwa v113, v83, v70 dst_sel:DWORD dst_unused:UNUSED_PAD src0_sel:DWORD src1_sel:BYTE_0
	v_lshlrev_b32_sdwa v116, v83, v59 dst_sel:DWORD dst_unused:UNUSED_PAD src0_sel:DWORD src1_sel:BYTE_0
	;; [unrolled: 1-line block ×4, first 2 shown]
	s_clause 0x4
	global_load_dwordx4 v[69:72], v112, s[8:9]
	global_load_dwordx4 v[73:76], v113, s[8:9]
	;; [unrolled: 1-line block ×5, first 2 shown]
	s_waitcnt vmcnt(0) lgkmcnt(0)
	s_barrier
	buffer_gl0_inv
	v_mul_f64 v[89:90], v[22:23], v[63:64]
	v_mul_f64 v[63:64], v[20:21], v[63:64]
	;; [unrolled: 1-line block ×12, first 2 shown]
	v_fma_f64 v[20:21], v[20:21], v[61:62], -v[89:90]
	v_fma_f64 v[22:23], v[22:23], v[61:62], v[63:64]
	v_mul_f64 v[61:62], v[42:43], v[87:88]
	v_mul_f64 v[63:64], v[40:41], v[87:88]
	v_fma_f64 v[12:13], v[12:13], v[65:66], -v[91:92]
	v_fma_f64 v[14:15], v[14:15], v[65:66], v[67:68]
	v_fma_f64 v[65:66], v[4:5], v[69:70], -v[93:94]
	v_fma_f64 v[67:68], v[6:7], v[69:70], v[71:72]
	;; [unrolled: 2-line block ×5, first 2 shown]
	v_and_b32_e32 v4, 0xffff, v101
	v_add_f64 v[6:7], v[2:3], -v[22:23]
	v_fma_f64 v[61:62], v[40:41], v[85:86], -v[61:62]
	v_fma_f64 v[63:64], v[42:43], v[85:86], v[63:64]
	v_and_b32_e32 v74, 0xffff, v102
	v_mad_u32_u24 v73, 0x1a0, v4, 0
	v_add_f64 v[4:5], v[0:1], -v[20:21]
	v_add_f64 v[20:21], v[44:45], -v[12:13]
	;; [unrolled: 1-line block ×3, first 2 shown]
	v_and_b32_e32 v75, 0xffff, v103
	v_add_f64 v[12:13], v[8:9], -v[65:66]
	v_add_f64 v[14:15], v[10:11], -v[67:68]
	;; [unrolled: 1-line block ×8, first 2 shown]
	v_mad_u32_u24 v65, 0x1a0, v75, 0
	v_fma_f64 v[2:3], v[2:3], 2.0, -v[6:7]
	v_add_f64 v[36:37], v[32:33], -v[61:62]
	v_add_f64 v[38:39], v[34:35], -v[63:64]
	v_and_b32_e32 v61, 0xffff, v104
	v_and_b32_e32 v62, 0xffff, v105
	;; [unrolled: 1-line block ×3, first 2 shown]
	v_fma_f64 v[0:1], v[0:1], 2.0, -v[4:5]
	v_fma_f64 v[104:105], v[44:45], 2.0, -v[20:21]
	;; [unrolled: 1-line block ×3, first 2 shown]
	v_mad_u32_u24 v64, 0x1a0, v74, 0
	v_mad_u32_u24 v61, 0x1a0, v61, 0
	;; [unrolled: 1-line block ×4, first 2 shown]
	v_fma_f64 v[8:9], v[8:9], 2.0, -v[12:13]
	v_fma_f64 v[10:11], v[10:11], 2.0, -v[14:15]
	;; [unrolled: 1-line block ×8, first 2 shown]
	v_add3_u32 v52, v73, v110, v57
	v_add3_u32 v53, v64, v111, v57
	v_fma_f64 v[32:33], v[32:33], 2.0, -v[36:37]
	v_fma_f64 v[34:35], v[34:35], 2.0, -v[38:39]
	v_add3_u32 v54, v65, v112, v57
	v_add3_u32 v55, v61, v113, v57
	;; [unrolled: 1-line block ×4, first 2 shown]
	ds_write_b128 v52, v[4:7] offset:208
	ds_write_b128 v52, v[0:3]
	ds_write_b128 v53, v[20:23] offset:208
	ds_write_b128 v53, v[104:107]
	ds_write_b128 v54, v[8:11]
	ds_write_b128 v54, v[12:15] offset:208
	ds_write_b128 v55, v[44:47]
	ds_write_b128 v55, v[24:27] offset:208
	ds_write_b128 v61, v[16:19]
	ds_write_b128 v61, v[28:31] offset:208
	ds_write_b128 v62, v[48:51]
	ds_write_b128 v62, v[40:43] offset:208
	s_and_saveexec_b32 s1, s0
	s_cbranch_execz .LBB0_17
; %bb.16:
	v_and_b32_e32 v52, 0xffff, v58
	v_mad_u32_u24 v52, 0x1a0, v52, 0
	v_add3_u32 v52, v52, v59, v57
	ds_write_b128 v52, v[32:35]
	ds_write_b128 v52, v[36:39] offset:208
.LBB0_17:
	s_or_b32 exec_lo, exec_lo, s1
	v_cmp_gt_u32_e64 s0, 26, v114
	s_waitcnt lgkmcnt(0)
	s_barrier
	buffer_gl0_inv
                                        ; implicit-def: $vgpr58_vgpr59
                                        ; implicit-def: $vgpr54_vgpr55
	s_and_saveexec_b32 s1, s0
	s_cbranch_execnz .LBB0_20
; %bb.18:
	s_or_b32 exec_lo, exec_lo, s1
	s_and_b32 s0, vcc_lo, s0
	s_and_saveexec_b32 s1, s0
	s_cbranch_execnz .LBB0_21
.LBB0_19:
	s_endpgm
.LBB0_20:
	ds_read_b128 v[0:3], v56
	ds_read_b128 v[4:7], v60 offset:416
	ds_read_b128 v[104:107], v60 offset:832
	;; [unrolled: 1-line block ×15, first 2 shown]
	s_or_b32 exec_lo, exec_lo, s1
	s_and_b32 s0, vcc_lo, s0
	s_and_saveexec_b32 s1, s0
	s_cbranch_execz .LBB0_19
.LBB0_21:
	v_mul_u32_u24_e32 v60, 15, v114
	v_add_co_u32 v130, vcc_lo, s12, v108
	v_add_co_ci_u32_e32 v131, vcc_lo, s13, v109, vcc_lo
	v_lshlrev_b32_e32 v115, 4, v60
	v_add_nc_u32_e32 v108, 0xea, v114
	v_add_nc_u32_e32 v109, 0x104, v114
	s_mov_b32 s1, 0xbfe6a09e
	s_mov_b32 s6, 0xcf328d46
	s_clause 0xb
	global_load_dwordx4 v[116:119], v115, s[8:9] offset:224
	global_load_dwordx4 v[60:63], v115, s[8:9] offset:352
	;; [unrolled: 1-line block ×12, first 2 shown]
	s_mov_b32 s7, 0x3fed906b
	s_mov_b32 s11, 0xbfd87de2
	;; [unrolled: 1-line block ×4, first 2 shown]
	s_waitcnt vmcnt(11) lgkmcnt(13)
	v_mul_f64 v[120:121], v[106:107], v[118:119]
	v_mul_f64 v[118:119], v[104:105], v[118:119]
	s_waitcnt vmcnt(10) lgkmcnt(5)
	v_mul_f64 v[110:111], v[50:51], v[62:63]
	v_mul_f64 v[112:113], v[48:49], v[62:63]
	v_fma_f64 v[104:105], v[104:105], v[116:117], -v[120:121]
	v_fma_f64 v[62:63], v[106:107], v[116:117], v[118:119]
	s_clause 0x1
	global_load_dwordx4 v[116:119], v115, s[8:9] offset:256
	global_load_dwordx4 v[120:123], v115, s[8:9] offset:384
	v_fma_f64 v[106:107], v[48:49], v[60:61], -v[110:111]
	v_fma_f64 v[60:61], v[50:51], v[60:61], v[112:113]
	global_load_dwordx4 v[48:51], v115, s[8:9] offset:320
	s_waitcnt vmcnt(12)
	v_mul_f64 v[110:111], v[46:47], v[80:81]
	v_mul_f64 v[46:47], v[46:47], v[82:83]
	s_mov_b32 s8, 0xa6aea964
	s_mov_b32 s9, 0x3fd87de2
	;; [unrolled: 1-line block ×3, first 2 shown]
	v_fma_f64 v[82:83], v[44:45], v[82:83], v[110:111]
	v_fma_f64 v[44:45], v[44:45], v[80:81], -v[46:47]
	s_waitcnt vmcnt(11) lgkmcnt(1)
	v_mul_f64 v[46:47], v[58:59], v[100:101]
	v_mul_f64 v[58:59], v[58:59], v[102:103]
	s_waitcnt vmcnt(10)
	v_mul_f64 v[80:81], v[22:23], v[98:99]
	v_mul_f64 v[98:99], v[20:21], v[98:99]
	v_fma_f64 v[46:47], v[56:57], v[102:103], v[46:47]
	v_fma_f64 v[56:57], v[56:57], v[100:101], -v[58:59]
	s_waitcnt vmcnt(9)
	v_mul_f64 v[58:59], v[42:43], v[94:95]
	s_waitcnt vmcnt(8)
	v_mul_f64 v[100:101], v[26:27], v[88:89]
	v_mul_f64 v[26:27], v[26:27], v[90:91]
	v_fma_f64 v[20:21], v[20:21], v[96:97], -v[80:81]
	v_fma_f64 v[22:23], v[22:23], v[96:97], v[98:99]
	s_waitcnt vmcnt(7) lgkmcnt(0)
	v_mul_f64 v[96:97], v[54:55], v[84:85]
	v_mul_f64 v[54:55], v[54:55], v[86:87]
	;; [unrolled: 1-line block ×3, first 2 shown]
	v_add_nc_u32_e32 v99, 52, v114
	v_add_nc_u32_e32 v103, 0x9c, v114
	;; [unrolled: 1-line block ×4, first 2 shown]
	v_mad_u64_u32 v[80:81], null, s2, v114, 0
	v_add_f64 v[46:47], v[82:83], -v[46:47]
	v_fma_f64 v[40:41], v[40:41], v[92:93], -v[58:59]
	s_waitcnt vmcnt(6)
	v_mul_f64 v[58:59], v[6:7], v[78:79]
	v_mul_f64 v[78:79], v[4:5], v[78:79]
	v_fma_f64 v[90:91], v[24:25], v[90:91], v[100:101]
	v_fma_f64 v[24:25], v[24:25], v[88:89], -v[26:27]
	s_waitcnt vmcnt(5)
	v_mul_f64 v[26:27], v[30:31], v[74:75]
	v_mul_f64 v[74:75], v[28:29], v[74:75]
	v_fma_f64 v[86:87], v[52:53], v[86:87], v[96:97]
	v_fma_f64 v[52:53], v[52:53], v[84:85], -v[54:55]
	s_waitcnt vmcnt(4)
	v_mul_f64 v[84:85], v[14:15], v[68:69]
	v_mul_f64 v[14:15], v[14:15], v[70:71]
	v_fma_f64 v[42:43], v[42:43], v[92:93], v[94:95]
	v_add_nc_u32_e32 v94, 0x4e, v114
	v_add_nc_u32_e32 v95, 0x68, v114
	;; [unrolled: 1-line block ×3, first 2 shown]
	v_mad_u64_u32 v[88:89], null, s2, v99, 0
	v_add_nc_u32_e32 v101, 0xd0, v114
	v_mad_u64_u32 v[54:55], null, s2, v98, 0
	v_mad_u64_u32 v[92:93], null, s2, v101, 0
	v_fma_f64 v[4:5], v[4:5], v[76:77], -v[58:59]
	v_fma_f64 v[6:7], v[6:7], v[76:77], v[78:79]
	s_waitcnt vmcnt(3)
	v_mul_f64 v[76:77], v[38:39], v[64:65]
	v_mul_f64 v[38:39], v[38:39], v[66:67]
	v_mad_u64_u32 v[58:59], null, s2, v94, 0
	v_mad_u64_u32 v[78:79], null, s2, v95, 0
	v_fma_f64 v[26:27], v[28:29], v[72:73], -v[26:27]
	v_fma_f64 v[28:29], v[30:31], v[72:73], v[74:75]
	v_mad_u64_u32 v[72:73], null, s2, v103, 0
	v_mad_u64_u32 v[74:75], null, s2, v100, 0
	;; [unrolled: 1-line block ×3, first 2 shown]
	v_fma_f64 v[70:71], v[12:13], v[70:71], v[84:85]
	v_mov_b32_e32 v84, v89
	v_fma_f64 v[12:13], v[12:13], v[68:69], -v[14:15]
	v_mad_u64_u32 v[14:15], null, s2, v108, 0
	v_mad_u64_u32 v[68:69], null, s2, v109, 0
	v_add_f64 v[42:43], v[22:23], -v[42:43]
	v_fma_f64 v[66:67], v[36:37], v[66:67], v[76:77]
	v_fma_f64 v[36:37], v[36:37], v[64:65], -v[38:39]
	v_mov_b32_e32 v38, v59
	v_mov_b32_e32 v39, v79
	;; [unrolled: 1-line block ×3, first 2 shown]
	v_mad_u64_u32 v[64:65], null, s3, v98, v[55:56]
	v_mov_b32_e32 v55, v75
	v_mad_u64_u32 v[75:76], null, s3, v99, v[84:85]
	v_mad_u64_u32 v[76:77], null, s3, v94, v[38:39]
	v_mov_b32_e32 v38, v93
	v_mad_u64_u32 v[93:94], null, s3, v102, v[31:32]
	v_mov_b32_e32 v31, v81
	v_mad_u64_u32 v[84:85], null, s3, v95, v[39:40]
	v_mad_u64_u32 v[94:95], null, s3, v103, v[59:60]
	;; [unrolled: 1-line block ×4, first 2 shown]
	v_mov_b32_e32 v15, v69
	v_mad_u64_u32 v[97:98], null, s3, v114, v[31:32]
	v_add_nc_u32_e32 v31, 0x11e, v114
	v_mov_b32_e32 v55, v64
	v_mad_u64_u32 v[98:99], null, s3, v109, v[15:16]
	v_mad_u64_u32 v[38:39], null, s3, v101, v[38:39]
	;; [unrolled: 1-line block ×3, first 2 shown]
	v_add_nc_u32_e32 v39, 0x152, v114
	v_mov_b32_e32 v79, v84
	v_mov_b32_e32 v59, v76
	;; [unrolled: 1-line block ×4, first 2 shown]
	v_mad_u64_u32 v[84:85], null, s2, v39, 0
	v_mov_b32_e32 v15, v100
	v_mov_b32_e32 v75, v95
	;; [unrolled: 1-line block ×4, first 2 shown]
	v_add_f64 v[60:61], v[62:63], -v[60:61]
	v_mad_u64_u32 v[64:65], null, s3, v31, v[15:16]
	v_add_nc_u32_e32 v31, 0x138, v114
	v_add_nc_u32_e32 v65, 0x186, v114
	v_add_f64 v[56:57], v[44:45], -v[56:57]
	v_add_f64 v[26:27], v[4:5], -v[26:27]
	;; [unrolled: 1-line block ×3, first 2 shown]
	v_mad_u64_u32 v[101:102], null, s2, v31, 0
	v_mad_u64_u32 v[94:95], null, s2, v65, 0
	v_mov_b32_e32 v100, v64
	v_add_f64 v[40:41], v[20:21], -v[40:41]
	v_add_f64 v[52:53], v[24:25], -v[52:53]
	;; [unrolled: 1-line block ×3, first 2 shown]
	v_mov_b32_e32 v15, v102
	v_add_f64 v[36:37], v[12:13], -v[36:37]
	v_lshlrev_b64 v[72:73], 4, v[72:73]
	v_lshlrev_b64 v[74:75], 4, v[74:75]
	;; [unrolled: 1-line block ×3, first 2 shown]
	v_mad_u64_u32 v[76:77], null, s3, v31, v[15:16]
	v_mov_b32_e32 v15, v85
	v_mov_b32_e32 v31, v93
	;; [unrolled: 1-line block ×3, first 2 shown]
	v_fma_f64 v[44:45], v[44:45], 2.0, -v[56:57]
	v_mad_u64_u32 v[108:109], null, s3, v39, v[15:16]
	v_add_nc_u32_e32 v39, 0x16c, v114
	v_mov_b32_e32 v102, v76
	v_fma_f64 v[4:5], v[4:5], 2.0, -v[26:27]
	v_lshlrev_b64 v[30:31], 4, v[30:31]
	v_mad_u64_u32 v[109:110], null, s2, v39, 0
	v_mov_b32_e32 v85, v108
	v_fma_f64 v[6:7], v[6:7], 2.0, -v[28:29]
	v_fma_f64 v[12:13], v[12:13], 2.0, -v[36:37]
	v_fma_f64 v[20:21], v[20:21], 2.0, -v[40:41]
	v_fma_f64 v[24:25], v[24:25], 2.0, -v[52:53]
	v_lshlrev_b64 v[84:85], 4, v[84:85]
	v_mov_b32_e32 v15, v110
	v_mad_u64_u32 v[38:39], null, s3, v39, v[15:16]
	v_mov_b32_e32 v15, v95
	v_mad_u64_u32 v[111:112], null, s3, v65, v[15:16]
	v_mov_b32_e32 v15, v96
	v_mov_b32_e32 v110, v38
	s_mov_b32 s2, 0x667f3bcd
	s_mov_b32 s3, 0x3fe6a09e
	;; [unrolled: 1-line block ×3, first 2 shown]
	v_add_f64 v[12:13], v[4:5], -v[12:13]
	v_add_f64 v[24:25], v[20:21], -v[24:25]
	v_lshlrev_b64 v[14:15], 4, v[14:15]
	v_fma_f64 v[4:5], v[4:5], 2.0, -v[12:13]
	v_fma_f64 v[20:21], v[20:21], 2.0, -v[24:25]
	v_add_f64 v[20:21], v[4:5], -v[20:21]
	s_waitcnt vmcnt(2)
	v_mul_f64 v[64:65], v[10:11], v[118:119]
	s_waitcnt vmcnt(1)
	v_mul_f64 v[95:96], v[34:35], v[122:123]
	v_mul_f64 v[38:39], v[8:9], v[118:119]
	;; [unrolled: 1-line block ×3, first 2 shown]
	s_waitcnt vmcnt(0)
	v_mul_f64 v[97:98], v[18:19], v[48:49]
	v_mul_f64 v[18:19], v[18:19], v[50:51]
	v_fma_f64 v[122:123], v[4:5], 2.0, -v[20:21]
	v_fma_f64 v[8:9], v[8:9], v[116:117], -v[64:65]
	v_fma_f64 v[32:33], v[32:33], v[120:121], -v[95:96]
	v_fma_f64 v[10:11], v[10:11], v[116:117], v[38:39]
	v_mov_b32_e32 v95, v111
	v_fma_f64 v[50:51], v[16:17], v[50:51], v[97:98]
	v_fma_f64 v[16:17], v[16:17], v[48:49], -v[18:19]
	v_fma_f64 v[18:19], v[34:35], v[120:121], v[76:77]
	v_lshlrev_b64 v[48:49], 4, v[58:59]
	v_add_f64 v[58:59], v[104:105], -v[106:107]
	v_add_f64 v[76:77], v[90:91], -v[86:87]
	v_lshlrev_b64 v[64:65], 4, v[80:81]
	v_lshlrev_b64 v[34:35], 4, v[54:55]
	;; [unrolled: 1-line block ×9, first 2 shown]
	v_add_f64 v[96:97], v[60:61], v[56:57]
	v_add_f64 v[100:101], v[26:27], -v[66:67]
	v_add_f64 v[106:107], v[42:43], v[52:53]
	v_add_f64 v[108:109], v[28:29], v[36:37]
	v_add_f64 v[32:33], v[8:9], -v[32:33]
	v_fma_f64 v[36:37], v[62:63], 2.0, -v[60:61]
	v_add_co_u32 v64, vcc_lo, v130, v64
	v_add_f64 v[50:51], v[2:3], -v[50:51]
	v_add_f64 v[16:17], v[0:1], -v[16:17]
	;; [unrolled: 1-line block ×5, first 2 shown]
	v_fma_f64 v[104:105], v[104:105], 2.0, -v[58:59]
	v_fma_f64 v[46:47], v[82:83], 2.0, -v[46:47]
	v_add_co_ci_u32_e32 v65, vcc_lo, v131, v65, vcc_lo
	v_fma_f64 v[56:57], v[60:61], 2.0, -v[96:97]
	v_fma_f64 v[26:27], v[26:27], 2.0, -v[100:101]
	;; [unrolled: 1-line block ×4, first 2 shown]
	v_fma_f64 v[60:61], v[106:107], s[2:3], v[108:109]
	v_add_f64 v[98:99], v[32:33], v[50:51]
	v_fma_f64 v[2:3], v[2:3], 2.0, -v[50:51]
	v_add_f64 v[110:111], v[16:17], -v[18:19]
	v_fma_f64 v[10:11], v[10:11], 2.0, -v[18:19]
	v_fma_f64 v[18:19], v[22:23], 2.0, -v[42:43]
	;; [unrolled: 1-line block ×8, first 2 shown]
	v_add_co_u32 v66, vcc_lo, v130, v34
	v_add_co_ci_u32_e32 v67, vcc_lo, v131, v35, vcc_lo
	v_add_co_u32 v70, vcc_lo, v130, v38
	v_fma_f64 v[58:59], v[102:103], s[2:3], v[100:101]
	v_add_f64 v[46:47], v[36:37], -v[46:47]
	v_add_f64 v[44:45], v[104:105], -v[44:45]
	v_add_co_ci_u32_e32 v71, vcc_lo, v131, v39, vcc_lo
	v_fma_f64 v[50:51], v[50:51], 2.0, -v[98:99]
	v_fma_f64 v[34:35], v[96:97], s[2:3], v[98:99]
	v_fma_f64 v[16:17], v[16:17], 2.0, -v[110:111]
	v_add_f64 v[10:11], v[2:3], -v[10:11]
	v_fma_f64 v[62:63], v[94:95], s[2:3], v[110:111]
	v_add_f64 v[22:23], v[18:19], -v[22:23]
	v_add_f64 v[8:9], v[0:1], -v[8:9]
	;; [unrolled: 1-line block ×3, first 2 shown]
	v_add_co_u32 v112, vcc_lo, v130, v48
	v_fma_f64 v[76:77], v[40:41], s[0:1], v[26:27]
	v_fma_f64 v[82:83], v[42:43], s[0:1], v[28:29]
	v_add_co_ci_u32_e32 v113, vcc_lo, v131, v49, vcc_lo
	v_fma_f64 v[60:61], v[102:103], s[2:3], v[60:61]
	v_fma_f64 v[48:49], v[106:107], s[0:1], v[58:59]
	v_fma_f64 v[36:37], v[36:37], 2.0, -v[46:47]
	v_fma_f64 v[58:59], v[104:105], 2.0, -v[44:45]
	v_fma_f64 v[38:39], v[56:57], s[0:1], v[50:51]
	v_fma_f64 v[34:35], v[94:95], s[2:3], v[34:35]
	;; [unrolled: 1-line block ×3, first 2 shown]
	v_fma_f64 v[2:3], v[2:3], 2.0, -v[10:11]
	v_add_f64 v[44:45], v[44:45], v[10:11]
	v_fma_f64 v[18:19], v[18:19], 2.0, -v[22:23]
	v_fma_f64 v[0:1], v[0:1], 2.0, -v[8:9]
	;; [unrolled: 1-line block ×3, first 2 shown]
	v_add_f64 v[24:25], v[32:33], v[24:25]
	v_add_f64 v[22:23], v[12:13], -v[22:23]
	v_add_f64 v[46:47], v[8:9], -v[46:47]
	v_fma_f64 v[40:41], v[40:41], s[2:3], v[82:83]
	v_fma_f64 v[62:63], v[96:97], s[0:1], v[62:63]
	v_add_co_u32 v82, vcc_lo, v130, v54
	v_add_co_ci_u32_e32 v83, vcc_lo, v131, v55, vcc_lo
	v_fma_f64 v[94:95], v[52:53], s[2:3], v[38:39]
	v_fma_f64 v[38:39], v[42:43], s[0:1], v[76:77]
	;; [unrolled: 1-line block ×3, first 2 shown]
	v_add_co_u32 v90, vcc_lo, v130, v30
	v_add_f64 v[42:43], v[2:3], -v[36:37]
	v_add_f64 v[52:53], v[0:1], -v[58:59]
	;; [unrolled: 1-line block ×3, first 2 shown]
	v_fma_f64 v[54:55], v[98:99], 2.0, -v[34:35]
	v_fma_f64 v[36:37], v[108:109], 2.0, -v[60:61]
	v_add_co_ci_u32_e32 v91, vcc_lo, v131, v31, vcc_lo
	v_fma_f64 v[30:31], v[100:101], 2.0, -v[48:49]
	v_fma_f64 v[56:57], v[10:11], 2.0, -v[44:45]
	;; [unrolled: 1-line block ×7, first 2 shown]
	v_fma_f64 v[8:9], v[60:61], s[6:7], v[34:35]
	v_fma_f64 v[12:13], v[24:25], s[2:3], v[44:45]
	;; [unrolled: 1-line block ×3, first 2 shown]
	v_fma_f64 v[100:101], v[50:51], 2.0, -v[94:95]
	v_fma_f64 v[50:51], v[26:27], 2.0, -v[38:39]
	;; [unrolled: 1-line block ×3, first 2 shown]
	v_fma_f64 v[16:17], v[22:23], s[2:3], v[46:47]
	v_fma_f64 v[26:27], v[40:41], s[8:9], v[94:95]
	v_fma_f64 v[116:117], v[2:3], 2.0, -v[42:43]
	v_fma_f64 v[120:121], v[0:1], 2.0, -v[52:53]
	v_fma_f64 v[118:119], v[6:7], 2.0, -v[18:19]
	v_fma_f64 v[104:105], v[38:39], s[8:9], v[76:77]
	v_fma_f64 v[106:107], v[36:37], s[10:11], v[54:55]
	v_add_co_u32 v72, vcc_lo, v130, v72
	v_add_co_ci_u32_e32 v73, vcc_lo, v131, v73, vcc_lo
	v_fma_f64 v[110:111], v[32:33], s[0:1], v[56:57]
	v_add_co_u32 v74, vcc_lo, v130, v74
	v_fma_f64 v[114:115], v[58:59], s[0:1], v[98:99]
	v_fma_f64 v[108:109], v[30:31], s[10:11], v[96:97]
	v_add_co_ci_u32_e32 v75, vcc_lo, v131, v75, vcc_lo
	v_add_co_u32 v78, vcc_lo, v130, v78
	v_fma_f64 v[124:125], v[28:29], s[4:5], v[100:101]
	v_fma_f64 v[126:127], v[50:51], s[4:5], v[102:103]
	v_add_co_ci_u32_e32 v79, vcc_lo, v131, v79, vcc_lo
	v_add_co_u32 v128, vcc_lo, v130, v14
	v_add_co_ci_u32_e32 v129, vcc_lo, v131, v15, vcc_lo
	v_fma_f64 v[2:3], v[48:49], s[8:9], v[8:9]
	v_fma_f64 v[4:5], v[24:25], s[0:1], v[16:17]
	v_add_f64 v[8:9], v[52:53], -v[18:19]
	v_fma_f64 v[14:15], v[38:39], s[6:7], v[26:27]
	v_fma_f64 v[18:19], v[30:31], s[6:7], v[106:107]
	v_add_f64 v[26:27], v[116:117], -v[118:119]
	v_add_f64 v[24:25], v[120:121], -v[122:123]
	v_fma_f64 v[6:7], v[22:23], s[2:3], v[12:13]
	v_fma_f64 v[22:23], v[58:59], s[2:3], v[110:111]
	;; [unrolled: 1-line block ×3, first 2 shown]
	v_add_f64 v[10:11], v[42:43], v[20:21]
	v_fma_f64 v[20:21], v[32:33], s[0:1], v[114:115]
	v_fma_f64 v[16:17], v[36:37], s[4:5], v[108:109]
	;; [unrolled: 1-line block ×5, first 2 shown]
	v_add_co_u32 v68, vcc_lo, v130, v68
	v_add_co_ci_u32_e32 v69, vcc_lo, v131, v69, vcc_lo
	v_add_co_u32 v80, vcc_lo, v130, v80
	v_fma_f64 v[34:35], v[34:35], 2.0, -v[2:3]
	v_fma_f64 v[36:37], v[46:47], 2.0, -v[4:5]
	;; [unrolled: 1-line block ×3, first 2 shown]
	v_add_co_ci_u32_e32 v81, vcc_lo, v131, v81, vcc_lo
	v_fma_f64 v[46:47], v[54:55], 2.0, -v[18:19]
	v_fma_f64 v[54:55], v[116:117], 2.0, -v[26:27]
	;; [unrolled: 1-line block ×13, first 2 shown]
	v_add_co_u32 v76, vcc_lo, v130, v86
	v_add_co_ci_u32_e32 v77, vcc_lo, v131, v87, vcc_lo
	v_add_co_u32 v84, vcc_lo, v130, v84
	v_add_co_ci_u32_e32 v85, vcc_lo, v131, v85, vcc_lo
	;; [unrolled: 2-line block ×4, first 2 shown]
	global_store_dwordx4 v[64:65], v[52:55], off
	global_store_dwordx4 v[66:67], v[56:59], off
	;; [unrolled: 1-line block ×16, first 2 shown]
	s_endpgm
	.section	.rodata,"a",@progbits
	.p2align	6, 0x0
	.amdhsa_kernel fft_rtc_fwd_len416_factors_13_2_16_wgs_64_tpt_32_dp_ip_CI_sbrr_dirReg
		.amdhsa_group_segment_fixed_size 0
		.amdhsa_private_segment_fixed_size 0
		.amdhsa_kernarg_size 88
		.amdhsa_user_sgpr_count 6
		.amdhsa_user_sgpr_private_segment_buffer 1
		.amdhsa_user_sgpr_dispatch_ptr 0
		.amdhsa_user_sgpr_queue_ptr 0
		.amdhsa_user_sgpr_kernarg_segment_ptr 1
		.amdhsa_user_sgpr_dispatch_id 0
		.amdhsa_user_sgpr_flat_scratch_init 0
		.amdhsa_user_sgpr_private_segment_size 0
		.amdhsa_wavefront_size32 1
		.amdhsa_uses_dynamic_stack 0
		.amdhsa_system_sgpr_private_segment_wavefront_offset 0
		.amdhsa_system_sgpr_workgroup_id_x 1
		.amdhsa_system_sgpr_workgroup_id_y 0
		.amdhsa_system_sgpr_workgroup_id_z 0
		.amdhsa_system_sgpr_workgroup_info 0
		.amdhsa_system_vgpr_workitem_id 0
		.amdhsa_next_free_vgpr 132
		.amdhsa_next_free_sgpr 44
		.amdhsa_reserve_vcc 1
		.amdhsa_reserve_flat_scratch 0
		.amdhsa_float_round_mode_32 0
		.amdhsa_float_round_mode_16_64 0
		.amdhsa_float_denorm_mode_32 3
		.amdhsa_float_denorm_mode_16_64 3
		.amdhsa_dx10_clamp 1
		.amdhsa_ieee_mode 1
		.amdhsa_fp16_overflow 0
		.amdhsa_workgroup_processor_mode 1
		.amdhsa_memory_ordered 1
		.amdhsa_forward_progress 0
		.amdhsa_shared_vgpr_count 0
		.amdhsa_exception_fp_ieee_invalid_op 0
		.amdhsa_exception_fp_denorm_src 0
		.amdhsa_exception_fp_ieee_div_zero 0
		.amdhsa_exception_fp_ieee_overflow 0
		.amdhsa_exception_fp_ieee_underflow 0
		.amdhsa_exception_fp_ieee_inexact 0
		.amdhsa_exception_int_div_zero 0
	.end_amdhsa_kernel
	.text
.Lfunc_end0:
	.size	fft_rtc_fwd_len416_factors_13_2_16_wgs_64_tpt_32_dp_ip_CI_sbrr_dirReg, .Lfunc_end0-fft_rtc_fwd_len416_factors_13_2_16_wgs_64_tpt_32_dp_ip_CI_sbrr_dirReg
                                        ; -- End function
	.section	.AMDGPU.csdata,"",@progbits
; Kernel info:
; codeLenInByte = 10240
; NumSgprs: 46
; NumVgprs: 132
; ScratchSize: 0
; MemoryBound: 1
; FloatMode: 240
; IeeeMode: 1
; LDSByteSize: 0 bytes/workgroup (compile time only)
; SGPRBlocks: 5
; VGPRBlocks: 16
; NumSGPRsForWavesPerEU: 46
; NumVGPRsForWavesPerEU: 132
; Occupancy: 7
; WaveLimiterHint : 1
; COMPUTE_PGM_RSRC2:SCRATCH_EN: 0
; COMPUTE_PGM_RSRC2:USER_SGPR: 6
; COMPUTE_PGM_RSRC2:TRAP_HANDLER: 0
; COMPUTE_PGM_RSRC2:TGID_X_EN: 1
; COMPUTE_PGM_RSRC2:TGID_Y_EN: 0
; COMPUTE_PGM_RSRC2:TGID_Z_EN: 0
; COMPUTE_PGM_RSRC2:TIDIG_COMP_CNT: 0
	.text
	.p2alignl 6, 3214868480
	.fill 48, 4, 3214868480
	.type	__hip_cuid_fa9552658af5a9d9,@object ; @__hip_cuid_fa9552658af5a9d9
	.section	.bss,"aw",@nobits
	.globl	__hip_cuid_fa9552658af5a9d9
__hip_cuid_fa9552658af5a9d9:
	.byte	0                               ; 0x0
	.size	__hip_cuid_fa9552658af5a9d9, 1

	.ident	"AMD clang version 19.0.0git (https://github.com/RadeonOpenCompute/llvm-project roc-6.4.0 25133 c7fe45cf4b819c5991fe208aaa96edf142730f1d)"
	.section	".note.GNU-stack","",@progbits
	.addrsig
	.addrsig_sym __hip_cuid_fa9552658af5a9d9
	.amdgpu_metadata
---
amdhsa.kernels:
  - .args:
      - .actual_access:  read_only
        .address_space:  global
        .offset:         0
        .size:           8
        .value_kind:     global_buffer
      - .offset:         8
        .size:           8
        .value_kind:     by_value
      - .actual_access:  read_only
        .address_space:  global
        .offset:         16
        .size:           8
        .value_kind:     global_buffer
      - .actual_access:  read_only
        .address_space:  global
        .offset:         24
        .size:           8
        .value_kind:     global_buffer
      - .offset:         32
        .size:           8
        .value_kind:     by_value
      - .actual_access:  read_only
        .address_space:  global
        .offset:         40
        .size:           8
        .value_kind:     global_buffer
      - .actual_access:  read_only
        .address_space:  global
        .offset:         48
        .size:           8
        .value_kind:     global_buffer
      - .offset:         56
        .size:           4
        .value_kind:     by_value
      - .actual_access:  read_only
        .address_space:  global
        .offset:         64
        .size:           8
        .value_kind:     global_buffer
      - .actual_access:  read_only
        .address_space:  global
        .offset:         72
        .size:           8
        .value_kind:     global_buffer
      - .address_space:  global
        .offset:         80
        .size:           8
        .value_kind:     global_buffer
    .group_segment_fixed_size: 0
    .kernarg_segment_align: 8
    .kernarg_segment_size: 88
    .language:       OpenCL C
    .language_version:
      - 2
      - 0
    .max_flat_workgroup_size: 64
    .name:           fft_rtc_fwd_len416_factors_13_2_16_wgs_64_tpt_32_dp_ip_CI_sbrr_dirReg
    .private_segment_fixed_size: 0
    .sgpr_count:     46
    .sgpr_spill_count: 0
    .symbol:         fft_rtc_fwd_len416_factors_13_2_16_wgs_64_tpt_32_dp_ip_CI_sbrr_dirReg.kd
    .uniform_work_group_size: 1
    .uses_dynamic_stack: false
    .vgpr_count:     132
    .vgpr_spill_count: 0
    .wavefront_size: 32
    .workgroup_processor_mode: 1
amdhsa.target:   amdgcn-amd-amdhsa--gfx1030
amdhsa.version:
  - 1
  - 2
...

	.end_amdgpu_metadata
